;; amdgpu-corpus repo=ROCm/rocFFT kind=compiled arch=gfx1201 opt=O3
	.text
	.amdgcn_target "amdgcn-amd-amdhsa--gfx1201"
	.amdhsa_code_object_version 6
	.protected	fft_rtc_back_len728_factors_13_7_8_wgs_104_tpt_104_halfLds_dp_op_CI_CI_unitstride_sbrr_C2R_dirReg ; -- Begin function fft_rtc_back_len728_factors_13_7_8_wgs_104_tpt_104_halfLds_dp_op_CI_CI_unitstride_sbrr_C2R_dirReg
	.globl	fft_rtc_back_len728_factors_13_7_8_wgs_104_tpt_104_halfLds_dp_op_CI_CI_unitstride_sbrr_C2R_dirReg
	.p2align	8
	.type	fft_rtc_back_len728_factors_13_7_8_wgs_104_tpt_104_halfLds_dp_op_CI_CI_unitstride_sbrr_C2R_dirReg,@function
fft_rtc_back_len728_factors_13_7_8_wgs_104_tpt_104_halfLds_dp_op_CI_CI_unitstride_sbrr_C2R_dirReg: ; @fft_rtc_back_len728_factors_13_7_8_wgs_104_tpt_104_halfLds_dp_op_CI_CI_unitstride_sbrr_C2R_dirReg
; %bb.0:
	s_clause 0x2
	s_load_b128 s[8:11], s[0:1], 0x0
	s_load_b128 s[4:7], s[0:1], 0x58
	;; [unrolled: 1-line block ×3, first 2 shown]
	v_mul_u32_u24_e32 v1, 0x277, v0
	v_mov_b32_e32 v3, 0
	s_delay_alu instid0(VALU_DEP_2) | instskip(NEXT) | instid1(VALU_DEP_1)
	v_lshrrev_b32_e32 v1, 16, v1
	v_add_nc_u32_e32 v5, ttmp9, v1
	v_mov_b32_e32 v1, 0
	v_mov_b32_e32 v2, 0
	;; [unrolled: 1-line block ×3, first 2 shown]
	s_wait_kmcnt 0x0
	v_cmp_lt_u64_e64 s2, s[10:11], 2
	s_delay_alu instid0(VALU_DEP_1)
	s_and_b32 vcc_lo, exec_lo, s2
	s_cbranch_vccnz .LBB0_8
; %bb.1:
	s_load_b64 s[2:3], s[0:1], 0x10
	v_mov_b32_e32 v1, 0
	v_mov_b32_e32 v2, 0
	s_add_nc_u64 s[16:17], s[14:15], 8
	s_add_nc_u64 s[18:19], s[12:13], 8
	s_mov_b64 s[20:21], 1
	s_delay_alu instid0(VALU_DEP_1)
	v_dual_mov_b32 v57, v2 :: v_dual_mov_b32 v56, v1
	s_wait_kmcnt 0x0
	s_add_nc_u64 s[22:23], s[2:3], 8
	s_mov_b32 s3, 0
.LBB0_2:                                ; =>This Inner Loop Header: Depth=1
	s_load_b64 s[24:25], s[22:23], 0x0
                                        ; implicit-def: $vgpr58_vgpr59
	s_mov_b32 s2, exec_lo
	s_wait_kmcnt 0x0
	v_or_b32_e32 v4, s25, v6
	s_delay_alu instid0(VALU_DEP_1)
	v_cmpx_ne_u64_e32 0, v[3:4]
	s_wait_alu 0xfffe
	s_xor_b32 s26, exec_lo, s2
	s_cbranch_execz .LBB0_4
; %bb.3:                                ;   in Loop: Header=BB0_2 Depth=1
	s_cvt_f32_u32 s2, s24
	s_cvt_f32_u32 s27, s25
	s_sub_nc_u64 s[30:31], 0, s[24:25]
	s_wait_alu 0xfffe
	s_delay_alu instid0(SALU_CYCLE_1) | instskip(SKIP_1) | instid1(SALU_CYCLE_2)
	s_fmamk_f32 s2, s27, 0x4f800000, s2
	s_wait_alu 0xfffe
	v_s_rcp_f32 s2, s2
	s_delay_alu instid0(TRANS32_DEP_1) | instskip(SKIP_1) | instid1(SALU_CYCLE_2)
	s_mul_f32 s2, s2, 0x5f7ffffc
	s_wait_alu 0xfffe
	s_mul_f32 s27, s2, 0x2f800000
	s_wait_alu 0xfffe
	s_delay_alu instid0(SALU_CYCLE_2) | instskip(SKIP_1) | instid1(SALU_CYCLE_2)
	s_trunc_f32 s27, s27
	s_wait_alu 0xfffe
	s_fmamk_f32 s2, s27, 0xcf800000, s2
	s_cvt_u32_f32 s29, s27
	s_wait_alu 0xfffe
	s_delay_alu instid0(SALU_CYCLE_1) | instskip(SKIP_1) | instid1(SALU_CYCLE_2)
	s_cvt_u32_f32 s28, s2
	s_wait_alu 0xfffe
	s_mul_u64 s[34:35], s[30:31], s[28:29]
	s_wait_alu 0xfffe
	s_mul_hi_u32 s37, s28, s35
	s_mul_i32 s36, s28, s35
	s_mul_hi_u32 s2, s28, s34
	s_mul_i32 s33, s29, s34
	s_wait_alu 0xfffe
	s_add_nc_u64 s[36:37], s[2:3], s[36:37]
	s_mul_hi_u32 s27, s29, s34
	s_mul_hi_u32 s38, s29, s35
	s_add_co_u32 s2, s36, s33
	s_wait_alu 0xfffe
	s_add_co_ci_u32 s2, s37, s27
	s_mul_i32 s34, s29, s35
	s_add_co_ci_u32 s35, s38, 0
	s_wait_alu 0xfffe
	s_add_nc_u64 s[34:35], s[2:3], s[34:35]
	s_wait_alu 0xfffe
	v_add_co_u32 v4, s2, s28, s34
	s_delay_alu instid0(VALU_DEP_1) | instskip(SKIP_1) | instid1(VALU_DEP_1)
	s_cmp_lg_u32 s2, 0
	s_add_co_ci_u32 s29, s29, s35
	v_readfirstlane_b32 s28, v4
	s_wait_alu 0xfffe
	s_delay_alu instid0(VALU_DEP_1)
	s_mul_u64 s[30:31], s[30:31], s[28:29]
	s_wait_alu 0xfffe
	s_mul_hi_u32 s35, s28, s31
	s_mul_i32 s34, s28, s31
	s_mul_hi_u32 s2, s28, s30
	s_mul_i32 s33, s29, s30
	s_wait_alu 0xfffe
	s_add_nc_u64 s[34:35], s[2:3], s[34:35]
	s_mul_hi_u32 s27, s29, s30
	s_mul_hi_u32 s28, s29, s31
	s_wait_alu 0xfffe
	s_add_co_u32 s2, s34, s33
	s_add_co_ci_u32 s2, s35, s27
	s_mul_i32 s30, s29, s31
	s_add_co_ci_u32 s31, s28, 0
	s_wait_alu 0xfffe
	s_add_nc_u64 s[30:31], s[2:3], s[30:31]
	s_wait_alu 0xfffe
	v_add_co_u32 v4, s2, v4, s30
	s_delay_alu instid0(VALU_DEP_1) | instskip(SKIP_1) | instid1(VALU_DEP_1)
	s_cmp_lg_u32 s2, 0
	s_add_co_ci_u32 s2, s29, s31
	v_mul_hi_u32 v13, v5, v4
	s_wait_alu 0xfffe
	v_mad_co_u64_u32 v[7:8], null, v5, s2, 0
	v_mad_co_u64_u32 v[9:10], null, v6, v4, 0
	;; [unrolled: 1-line block ×3, first 2 shown]
	s_delay_alu instid0(VALU_DEP_3) | instskip(SKIP_1) | instid1(VALU_DEP_4)
	v_add_co_u32 v4, vcc_lo, v13, v7
	s_wait_alu 0xfffd
	v_add_co_ci_u32_e32 v7, vcc_lo, 0, v8, vcc_lo
	s_delay_alu instid0(VALU_DEP_2) | instskip(SKIP_1) | instid1(VALU_DEP_2)
	v_add_co_u32 v4, vcc_lo, v4, v9
	s_wait_alu 0xfffd
	v_add_co_ci_u32_e32 v4, vcc_lo, v7, v10, vcc_lo
	s_wait_alu 0xfffd
	v_add_co_ci_u32_e32 v7, vcc_lo, 0, v12, vcc_lo
	s_delay_alu instid0(VALU_DEP_2) | instskip(SKIP_1) | instid1(VALU_DEP_2)
	v_add_co_u32 v4, vcc_lo, v4, v11
	s_wait_alu 0xfffd
	v_add_co_ci_u32_e32 v9, vcc_lo, 0, v7, vcc_lo
	s_delay_alu instid0(VALU_DEP_2) | instskip(SKIP_1) | instid1(VALU_DEP_3)
	v_mul_lo_u32 v10, s25, v4
	v_mad_co_u64_u32 v[7:8], null, s24, v4, 0
	v_mul_lo_u32 v11, s24, v9
	s_delay_alu instid0(VALU_DEP_2) | instskip(NEXT) | instid1(VALU_DEP_2)
	v_sub_co_u32 v7, vcc_lo, v5, v7
	v_add3_u32 v8, v8, v11, v10
	s_delay_alu instid0(VALU_DEP_1) | instskip(SKIP_1) | instid1(VALU_DEP_1)
	v_sub_nc_u32_e32 v10, v6, v8
	s_wait_alu 0xfffd
	v_subrev_co_ci_u32_e64 v10, s2, s25, v10, vcc_lo
	v_add_co_u32 v11, s2, v4, 2
	s_wait_alu 0xf1ff
	v_add_co_ci_u32_e64 v12, s2, 0, v9, s2
	v_sub_co_u32 v13, s2, v7, s24
	v_sub_co_ci_u32_e32 v8, vcc_lo, v6, v8, vcc_lo
	s_wait_alu 0xf1ff
	v_subrev_co_ci_u32_e64 v10, s2, 0, v10, s2
	s_delay_alu instid0(VALU_DEP_3) | instskip(NEXT) | instid1(VALU_DEP_3)
	v_cmp_le_u32_e32 vcc_lo, s24, v13
	v_cmp_eq_u32_e64 s2, s25, v8
	s_wait_alu 0xfffd
	v_cndmask_b32_e64 v13, 0, -1, vcc_lo
	v_cmp_le_u32_e32 vcc_lo, s25, v10
	s_wait_alu 0xfffd
	v_cndmask_b32_e64 v14, 0, -1, vcc_lo
	v_cmp_le_u32_e32 vcc_lo, s24, v7
	;; [unrolled: 3-line block ×3, first 2 shown]
	s_wait_alu 0xfffd
	v_cndmask_b32_e64 v15, 0, -1, vcc_lo
	v_cmp_eq_u32_e32 vcc_lo, s25, v10
	s_wait_alu 0xf1ff
	s_delay_alu instid0(VALU_DEP_2)
	v_cndmask_b32_e64 v7, v15, v7, s2
	s_wait_alu 0xfffd
	v_cndmask_b32_e32 v10, v14, v13, vcc_lo
	v_add_co_u32 v13, vcc_lo, v4, 1
	s_wait_alu 0xfffd
	v_add_co_ci_u32_e32 v14, vcc_lo, 0, v9, vcc_lo
	s_delay_alu instid0(VALU_DEP_3) | instskip(SKIP_1) | instid1(VALU_DEP_2)
	v_cmp_ne_u32_e32 vcc_lo, 0, v10
	s_wait_alu 0xfffd
	v_cndmask_b32_e32 v8, v14, v12, vcc_lo
	v_cndmask_b32_e32 v10, v13, v11, vcc_lo
	v_cmp_ne_u32_e32 vcc_lo, 0, v7
	s_wait_alu 0xfffd
	s_delay_alu instid0(VALU_DEP_2)
	v_dual_cndmask_b32 v59, v9, v8 :: v_dual_cndmask_b32 v58, v4, v10
.LBB0_4:                                ;   in Loop: Header=BB0_2 Depth=1
	s_wait_alu 0xfffe
	s_and_not1_saveexec_b32 s2, s26
	s_cbranch_execz .LBB0_6
; %bb.5:                                ;   in Loop: Header=BB0_2 Depth=1
	v_cvt_f32_u32_e32 v4, s24
	s_sub_co_i32 s26, 0, s24
	v_mov_b32_e32 v59, v3
	s_delay_alu instid0(VALU_DEP_2) | instskip(NEXT) | instid1(TRANS32_DEP_1)
	v_rcp_iflag_f32_e32 v4, v4
	v_mul_f32_e32 v4, 0x4f7ffffe, v4
	s_delay_alu instid0(VALU_DEP_1) | instskip(SKIP_1) | instid1(VALU_DEP_1)
	v_cvt_u32_f32_e32 v4, v4
	s_wait_alu 0xfffe
	v_mul_lo_u32 v7, s26, v4
	s_delay_alu instid0(VALU_DEP_1) | instskip(NEXT) | instid1(VALU_DEP_1)
	v_mul_hi_u32 v7, v4, v7
	v_add_nc_u32_e32 v4, v4, v7
	s_delay_alu instid0(VALU_DEP_1) | instskip(NEXT) | instid1(VALU_DEP_1)
	v_mul_hi_u32 v4, v5, v4
	v_mul_lo_u32 v7, v4, s24
	v_add_nc_u32_e32 v8, 1, v4
	s_delay_alu instid0(VALU_DEP_2) | instskip(NEXT) | instid1(VALU_DEP_1)
	v_sub_nc_u32_e32 v7, v5, v7
	v_subrev_nc_u32_e32 v9, s24, v7
	v_cmp_le_u32_e32 vcc_lo, s24, v7
	s_wait_alu 0xfffd
	s_delay_alu instid0(VALU_DEP_2) | instskip(NEXT) | instid1(VALU_DEP_1)
	v_dual_cndmask_b32 v7, v7, v9 :: v_dual_cndmask_b32 v4, v4, v8
	v_cmp_le_u32_e32 vcc_lo, s24, v7
	s_delay_alu instid0(VALU_DEP_2) | instskip(SKIP_1) | instid1(VALU_DEP_1)
	v_add_nc_u32_e32 v8, 1, v4
	s_wait_alu 0xfffd
	v_cndmask_b32_e32 v58, v4, v8, vcc_lo
.LBB0_6:                                ;   in Loop: Header=BB0_2 Depth=1
	s_wait_alu 0xfffe
	s_or_b32 exec_lo, exec_lo, s2
	v_mul_lo_u32 v4, v59, s24
	s_delay_alu instid0(VALU_DEP_2)
	v_mul_lo_u32 v9, v58, s25
	s_load_b64 s[26:27], s[18:19], 0x0
	v_mad_co_u64_u32 v[7:8], null, v58, s24, 0
	s_load_b64 s[24:25], s[16:17], 0x0
	s_add_nc_u64 s[20:21], s[20:21], 1
	s_add_nc_u64 s[16:17], s[16:17], 8
	s_wait_alu 0xfffe
	v_cmp_ge_u64_e64 s2, s[20:21], s[10:11]
	s_add_nc_u64 s[18:19], s[18:19], 8
	s_add_nc_u64 s[22:23], s[22:23], 8
	v_add3_u32 v4, v8, v9, v4
	v_sub_co_u32 v5, vcc_lo, v5, v7
	s_wait_alu 0xfffd
	s_delay_alu instid0(VALU_DEP_2) | instskip(SKIP_2) | instid1(VALU_DEP_1)
	v_sub_co_ci_u32_e32 v4, vcc_lo, v6, v4, vcc_lo
	s_and_b32 vcc_lo, exec_lo, s2
	s_wait_kmcnt 0x0
	v_mul_lo_u32 v6, s26, v4
	v_mul_lo_u32 v7, s27, v5
	v_mad_co_u64_u32 v[1:2], null, s26, v5, v[1:2]
	v_mul_lo_u32 v4, s24, v4
	v_mul_lo_u32 v8, s25, v5
	v_mad_co_u64_u32 v[56:57], null, s24, v5, v[56:57]
	s_delay_alu instid0(VALU_DEP_4) | instskip(NEXT) | instid1(VALU_DEP_2)
	v_add3_u32 v2, v7, v2, v6
	v_add3_u32 v57, v8, v57, v4
	s_wait_alu 0xfffe
	s_cbranch_vccnz .LBB0_9
; %bb.7:                                ;   in Loop: Header=BB0_2 Depth=1
	v_dual_mov_b32 v5, v58 :: v_dual_mov_b32 v6, v59
	s_branch .LBB0_2
.LBB0_8:
	v_dual_mov_b32 v57, v2 :: v_dual_mov_b32 v56, v1
	v_dual_mov_b32 v59, v6 :: v_dual_mov_b32 v58, v5
.LBB0_9:
	s_load_b64 s[0:1], s[0:1], 0x28
	v_mul_hi_u32 v3, 0x2762763, v0
	s_lshl_b64 s[10:11], s[10:11], 3
                                        ; implicit-def: $vgpr60
	s_wait_alu 0xfffe
	s_add_nc_u64 s[2:3], s[14:15], s[10:11]
	s_wait_kmcnt 0x0
	v_cmp_gt_u64_e32 vcc_lo, s[0:1], v[58:59]
	v_cmp_le_u64_e64 s0, s[0:1], v[58:59]
	s_delay_alu instid0(VALU_DEP_1)
	s_and_saveexec_b32 s1, s0
	s_wait_alu 0xfffe
	s_xor_b32 s0, exec_lo, s1
; %bb.10:
	v_mul_u32_u24_e32 v1, 0x68, v3
                                        ; implicit-def: $vgpr3
	s_delay_alu instid0(VALU_DEP_1)
	v_sub_nc_u32_e32 v60, v0, v1
                                        ; implicit-def: $vgpr0
                                        ; implicit-def: $vgpr1_vgpr2
; %bb.11:
	s_wait_alu 0xfffe
	s_or_saveexec_b32 s1, s0
	s_load_b64 s[2:3], s[2:3], 0x0
	s_xor_b32 exec_lo, exec_lo, s1
	s_cbranch_execz .LBB0_15
; %bb.12:
	s_add_nc_u64 s[10:11], s[12:13], s[10:11]
	v_lshlrev_b64_e32 v[1:2], 4, v[1:2]
	s_load_b64 s[10:11], s[10:11], 0x0
	s_wait_kmcnt 0x0
	v_mul_lo_u32 v6, s11, v58
	v_mul_lo_u32 v7, s10, v59
	v_mad_co_u64_u32 v[4:5], null, s10, v58, 0
	s_delay_alu instid0(VALU_DEP_1) | instskip(SKIP_1) | instid1(VALU_DEP_2)
	v_add3_u32 v5, v5, v7, v6
	v_mul_u32_u24_e32 v6, 0x68, v3
	v_lshlrev_b64_e32 v[3:4], 4, v[4:5]
	s_delay_alu instid0(VALU_DEP_2) | instskip(NEXT) | instid1(VALU_DEP_1)
	v_sub_nc_u32_e32 v60, v0, v6
	v_lshlrev_b32_e32 v30, 4, v60
	s_delay_alu instid0(VALU_DEP_3) | instskip(SKIP_1) | instid1(VALU_DEP_4)
	v_add_co_u32 v0, s0, s4, v3
	s_wait_alu 0xf1ff
	v_add_co_ci_u32_e64 v3, s0, s5, v4, s0
	s_mov_b32 s4, exec_lo
	s_delay_alu instid0(VALU_DEP_2) | instskip(SKIP_1) | instid1(VALU_DEP_2)
	v_add_co_u32 v0, s0, v0, v1
	s_wait_alu 0xf1ff
	v_add_co_ci_u32_e64 v1, s0, v3, v2, s0
	s_delay_alu instid0(VALU_DEP_2) | instskip(SKIP_1) | instid1(VALU_DEP_2)
	v_add_co_u32 v26, s0, v0, v30
	s_wait_alu 0xf1ff
	v_add_co_ci_u32_e64 v27, s0, 0, v1, s0
	s_clause 0x6
	global_load_b128 v[2:5], v[26:27], off
	global_load_b128 v[6:9], v[26:27], off offset:1664
	global_load_b128 v[10:13], v[26:27], off offset:3328
	global_load_b128 v[14:17], v[26:27], off offset:4992
	global_load_b128 v[18:21], v[26:27], off offset:6656
	global_load_b128 v[22:25], v[26:27], off offset:8320
	global_load_b128 v[26:29], v[26:27], off offset:9984
	v_add_nc_u32_e32 v30, 0, v30
	s_wait_loadcnt 0x6
	ds_store_b128 v30, v[2:5]
	s_wait_loadcnt 0x5
	ds_store_b128 v30, v[6:9] offset:1664
	s_wait_loadcnt 0x4
	ds_store_b128 v30, v[10:13] offset:3328
	;; [unrolled: 2-line block ×6, first 2 shown]
	v_cmpx_eq_u32_e32 0x67, v60
	s_cbranch_execz .LBB0_14
; %bb.13:
	global_load_b128 v[0:3], v[0:1], off offset:11648
	v_mov_b32_e32 v4, 0
	v_mov_b32_e32 v60, 0x67
	s_wait_loadcnt 0x0
	ds_store_b128 v4, v[0:3] offset:11648
.LBB0_14:
	s_wait_alu 0xfffe
	s_or_b32 exec_lo, exec_lo, s4
.LBB0_15:
	s_delay_alu instid0(SALU_CYCLE_1)
	s_or_b32 exec_lo, exec_lo, s1
	v_lshlrev_b32_e32 v0, 4, v60
	global_wb scope:SCOPE_SE
	s_wait_dscnt 0x0
	s_wait_kmcnt 0x0
	s_barrier_signal -1
	s_barrier_wait -1
	global_inv scope:SCOPE_SE
	v_add_nc_u32_e32 v137, 0, v0
	v_sub_nc_u32_e32 v10, 0, v0
	s_mov_b32 s1, exec_lo
                                        ; implicit-def: $vgpr4_vgpr5
	ds_load_b64 v[6:7], v137
	ds_load_b64 v[8:9], v10 offset:11648
	s_wait_dscnt 0x0
	v_add_f64_e32 v[0:1], v[6:7], v[8:9]
	v_add_f64_e64 v[2:3], v[6:7], -v[8:9]
	v_cmpx_ne_u32_e32 0, v60
	s_wait_alu 0xfffe
	s_xor_b32 s1, exec_lo, s1
	s_cbranch_execz .LBB0_17
; %bb.16:
	v_mov_b32_e32 v61, 0
	v_add_f64_e32 v[13:14], v[6:7], v[8:9]
	v_add_f64_e64 v[15:16], v[6:7], -v[8:9]
	s_delay_alu instid0(VALU_DEP_3) | instskip(NEXT) | instid1(VALU_DEP_1)
	v_lshlrev_b64_e32 v[0:1], 4, v[60:61]
	v_add_co_u32 v0, s0, s8, v0
	s_wait_alu 0xf1ff
	s_delay_alu instid0(VALU_DEP_2)
	v_add_co_ci_u32_e64 v1, s0, s9, v1, s0
	global_load_b128 v[2:5], v[0:1], off offset:11440
	ds_load_b64 v[0:1], v10 offset:11656
	ds_load_b64 v[11:12], v137 offset:8
	s_wait_dscnt 0x0
	v_add_f64_e32 v[6:7], v[0:1], v[11:12]
	v_add_f64_e64 v[0:1], v[11:12], -v[0:1]
	s_wait_loadcnt 0x0
	v_fma_f64 v[8:9], v[15:16], v[4:5], v[13:14]
	v_fma_f64 v[11:12], -v[15:16], v[4:5], v[13:14]
	s_delay_alu instid0(VALU_DEP_3) | instskip(SKIP_1) | instid1(VALU_DEP_4)
	v_fma_f64 v[13:14], v[6:7], v[4:5], -v[0:1]
	v_fma_f64 v[4:5], v[6:7], v[4:5], v[0:1]
	v_fma_f64 v[0:1], -v[6:7], v[2:3], v[8:9]
	s_delay_alu instid0(VALU_DEP_4) | instskip(NEXT) | instid1(VALU_DEP_4)
	v_fma_f64 v[6:7], v[6:7], v[2:3], v[11:12]
	v_fma_f64 v[8:9], v[15:16], v[2:3], v[13:14]
	s_delay_alu instid0(VALU_DEP_4)
	v_fma_f64 v[2:3], v[15:16], v[2:3], v[4:5]
	v_dual_mov_b32 v4, v60 :: v_dual_mov_b32 v5, v61
	ds_store_b128 v10, v[6:9] offset:11648
.LBB0_17:
	s_wait_alu 0xfffe
	s_and_not1_saveexec_b32 s0, s1
	s_cbranch_execz .LBB0_19
; %bb.18:
	v_mov_b32_e32 v8, 0
	ds_load_b128 v[4:7], v8 offset:5824
	s_wait_dscnt 0x0
	v_add_f64_e32 v[11:12], v[4:5], v[4:5]
	v_mul_f64_e32 v[13:14], -2.0, v[6:7]
	v_mov_b32_e32 v4, 0
	v_mov_b32_e32 v5, 0
	ds_store_b128 v8, v[11:14] offset:5824
.LBB0_19:
	s_wait_alu 0xfffe
	s_or_b32 exec_lo, exec_lo, s0
	v_lshlrev_b64_e32 v[4:5], 4, v[4:5]
	s_add_nc_u64 s[0:1], s[8:9], 0x2cb0
	s_wait_alu 0xfffe
	s_delay_alu instid0(VALU_DEP_1) | instskip(SKIP_1) | instid1(VALU_DEP_2)
	v_add_co_u32 v4, s0, s0, v4
	s_wait_alu 0xf1ff
	v_add_co_ci_u32_e64 v5, s0, s1, v5, s0
	s_mov_b32 s1, exec_lo
	s_clause 0x1
	global_load_b128 v[6:9], v[4:5], off offset:1664
	global_load_b128 v[11:14], v[4:5], off offset:3328
	ds_store_b128 v137, v[0:3]
	ds_load_b128 v[0:3], v137 offset:1664
	ds_load_b128 v[15:18], v10 offset:9984
	s_wait_dscnt 0x0
	v_add_f64_e32 v[19:20], v[0:1], v[15:16]
	v_add_f64_e32 v[21:22], v[17:18], v[2:3]
	v_add_f64_e64 v[23:24], v[0:1], -v[15:16]
	v_add_f64_e64 v[0:1], v[2:3], -v[17:18]
	s_wait_loadcnt 0x1
	s_delay_alu instid0(VALU_DEP_2) | instskip(NEXT) | instid1(VALU_DEP_2)
	v_fma_f64 v[2:3], v[23:24], v[8:9], v[19:20]
	v_fma_f64 v[15:16], v[21:22], v[8:9], v[0:1]
	v_fma_f64 v[17:18], -v[23:24], v[8:9], v[19:20]
	v_fma_f64 v[8:9], v[21:22], v[8:9], -v[0:1]
	s_delay_alu instid0(VALU_DEP_4) | instskip(NEXT) | instid1(VALU_DEP_4)
	v_fma_f64 v[0:1], -v[21:22], v[6:7], v[2:3]
	v_fma_f64 v[2:3], v[23:24], v[6:7], v[15:16]
	s_delay_alu instid0(VALU_DEP_4) | instskip(NEXT) | instid1(VALU_DEP_4)
	v_fma_f64 v[15:16], v[21:22], v[6:7], v[17:18]
	v_fma_f64 v[17:18], v[23:24], v[6:7], v[8:9]
	ds_store_b128 v137, v[0:3] offset:1664
	ds_store_b128 v10, v[15:18] offset:9984
	ds_load_b128 v[0:3], v137 offset:3328
	ds_load_b128 v[6:9], v10 offset:8320
	s_wait_dscnt 0x0
	v_add_f64_e32 v[15:16], v[0:1], v[6:7]
	v_add_f64_e32 v[17:18], v[8:9], v[2:3]
	v_add_f64_e64 v[19:20], v[0:1], -v[6:7]
	v_add_f64_e64 v[0:1], v[2:3], -v[8:9]
	s_wait_loadcnt 0x0
	s_delay_alu instid0(VALU_DEP_2) | instskip(NEXT) | instid1(VALU_DEP_2)
	v_fma_f64 v[2:3], v[19:20], v[13:14], v[15:16]
	v_fma_f64 v[6:7], v[17:18], v[13:14], v[0:1]
	v_fma_f64 v[8:9], -v[19:20], v[13:14], v[15:16]
	v_fma_f64 v[13:14], v[17:18], v[13:14], -v[0:1]
	s_delay_alu instid0(VALU_DEP_4) | instskip(NEXT) | instid1(VALU_DEP_4)
	v_fma_f64 v[0:1], -v[17:18], v[11:12], v[2:3]
	v_fma_f64 v[2:3], v[19:20], v[11:12], v[6:7]
	s_delay_alu instid0(VALU_DEP_4) | instskip(NEXT) | instid1(VALU_DEP_4)
	v_fma_f64 v[6:7], v[17:18], v[11:12], v[8:9]
	v_fma_f64 v[8:9], v[19:20], v[11:12], v[13:14]
	ds_store_b128 v137, v[0:3] offset:3328
	ds_store_b128 v10, v[6:9] offset:8320
	v_cmpx_gt_u32_e32 52, v60
	s_cbranch_execz .LBB0_21
; %bb.20:
	global_load_b128 v[0:3], v[4:5], off offset:4992
	ds_load_b128 v[4:7], v137 offset:4992
	ds_load_b128 v[11:14], v10 offset:6656
	s_wait_dscnt 0x0
	v_add_f64_e32 v[8:9], v[4:5], v[11:12]
	v_add_f64_e32 v[15:16], v[13:14], v[6:7]
	v_add_f64_e64 v[11:12], v[4:5], -v[11:12]
	v_add_f64_e64 v[4:5], v[6:7], -v[13:14]
	s_wait_loadcnt 0x0
	s_delay_alu instid0(VALU_DEP_2) | instskip(NEXT) | instid1(VALU_DEP_2)
	v_fma_f64 v[6:7], v[11:12], v[2:3], v[8:9]
	v_fma_f64 v[13:14], v[15:16], v[2:3], v[4:5]
	v_fma_f64 v[8:9], -v[11:12], v[2:3], v[8:9]
	v_fma_f64 v[17:18], v[15:16], v[2:3], -v[4:5]
	s_delay_alu instid0(VALU_DEP_4) | instskip(NEXT) | instid1(VALU_DEP_4)
	v_fma_f64 v[2:3], -v[15:16], v[0:1], v[6:7]
	v_fma_f64 v[4:5], v[11:12], v[0:1], v[13:14]
	s_delay_alu instid0(VALU_DEP_4) | instskip(NEXT) | instid1(VALU_DEP_4)
	v_fma_f64 v[6:7], v[15:16], v[0:1], v[8:9]
	v_fma_f64 v[8:9], v[11:12], v[0:1], v[17:18]
	ds_store_b128 v137, v[2:5] offset:4992
	ds_store_b128 v10, v[6:9] offset:6656
.LBB0_21:
	s_wait_alu 0xfffe
	s_or_b32 exec_lo, exec_lo, s1
	global_wb scope:SCOPE_SE
	s_wait_dscnt 0x0
	s_barrier_signal -1
	s_barrier_wait -1
	global_inv scope:SCOPE_SE
	global_wb scope:SCOPE_SE
	s_barrier_signal -1
	s_barrier_wait -1
	global_inv scope:SCOPE_SE
	ds_load_b128 v[4:7], v137 offset:10752
	ds_load_b128 v[44:47], v137 offset:896
	ds_load_b128 v[20:23], v137
	ds_load_b128 v[8:11], v137 offset:9856
	ds_load_b128 v[52:55], v137 offset:1792
	;; [unrolled: 1-line block ×3, first 2 shown]
	s_mov_b32 s18, 0x4bc48dbf
	s_mov_b32 s4, 0x93053d00
	;; [unrolled: 1-line block ×4, first 2 shown]
	ds_load_b128 v[12:15], v137 offset:8960
	s_mov_b32 s10, 0xe00740e9
	s_mov_b32 s25, 0x3fddbe06
	;; [unrolled: 1-line block ×4, first 2 shown]
	ds_load_b128 v[16:19], v137 offset:8064
	ds_load_b128 v[40:43], v137 offset:3584
	s_mov_b32 s20, 0x24c2f84
	s_mov_b32 s12, 0xd0032e0c
	;; [unrolled: 1-line block ×4, first 2 shown]
	ds_load_b128 v[28:31], v137 offset:4480
	ds_load_b128 v[24:27], v137 offset:7168
	s_mov_b32 s26, 0x42a4c3d2
	s_wait_dscnt 0x9
	v_add_f64_e64 v[93:94], v[46:47], -v[6:7]
	v_add_f64_e32 v[79:80], v[46:47], v[6:7]
	v_add_f64_e32 v[81:82], v[44:45], v[4:5]
	s_wait_dscnt 0x6
	v_add_f64_e64 v[101:102], v[54:55], -v[10:11]
	v_add_f64_e64 v[105:106], v[44:45], -v[4:5]
	v_add_f64_e32 v[73:74], v[54:55], v[10:11]
	v_add_f64_e32 v[75:76], v[52:53], v[8:9]
	s_wait_dscnt 0x4
	v_add_f64_e64 v[103:104], v[50:51], -v[14:15]
	v_add_f64_e64 v[107:108], v[52:53], -v[8:9]
	v_add_f64_e32 v[77:78], v[50:51], v[14:15]
	v_add_f64_e32 v[89:90], v[48:49], v[12:13]
	v_add_f64_e64 v[117:118], v[48:49], -v[12:13]
	s_wait_dscnt 0x2
	v_add_f64_e64 v[83:84], v[42:43], -v[18:19]
	v_add_f64_e32 v[67:68], v[42:43], v[18:19]
	s_mov_b32 s14, 0x1ea71119
	s_mov_b32 s27, 0x3fea55e2
	s_mov_b32 s15, 0x3fe22d96
	v_add_f64_e32 v[71:72], v[40:41], v[16:17]
	v_add_f64_e64 v[87:88], v[40:41], -v[16:17]
	s_wait_dscnt 0x0
	v_add_f64_e64 v[85:86], v[30:31], -v[26:27]
	v_add_f64_e32 v[61:62], v[30:31], v[26:27]
	s_mov_b32 s16, 0xb2365da1
	s_mov_b32 s28, 0x2ef20147
	;; [unrolled: 1-line block ×4, first 2 shown]
	v_add_f64_e32 v[69:70], v[28:29], v[24:25]
	v_add_f64_e64 v[109:110], v[28:29], -v[24:25]
	s_mov_b32 s22, 0xebaa3ed8
	s_mov_b32 s30, 0x66966769
	;; [unrolled: 1-line block ×4, first 2 shown]
	s_mov_b32 s33, exec_lo
	v_mul_f64_e32 v[95:96], s[18:19], v[93:94]
	s_wait_alu 0xfffe
	v_mul_f64_e32 v[99:100], s[4:5], v[79:80]
	v_mul_f64_e32 v[91:92], s[24:25], v[101:102]
	;; [unrolled: 1-line block ×9, first 2 shown]
	v_fma_f64 v[0:1], v[81:82], s[4:5], -v[95:96]
	v_fma_f64 v[2:3], v[105:106], s[18:19], v[99:100]
	v_fma_f64 v[32:33], v[75:76], s[10:11], -v[91:92]
	v_fma_f64 v[34:35], v[107:108], s[24:25], v[97:98]
	;; [unrolled: 2-line block ×5, first 2 shown]
	v_add_f64_e32 v[0:1], v[20:21], v[0:1]
	v_add_f64_e32 v[2:3], v[22:23], v[2:3]
	s_delay_alu instid0(VALU_DEP_2) | instskip(NEXT) | instid1(VALU_DEP_2)
	v_add_f64_e32 v[0:1], v[32:33], v[0:1]
	v_add_f64_e32 v[2:3], v[34:35], v[2:3]
	ds_load_b128 v[36:39], v137 offset:5376
	ds_load_b128 v[32:35], v137 offset:6272
	global_wb scope:SCOPE_SE
	s_wait_dscnt 0x0
	s_barrier_signal -1
	s_barrier_wait -1
	global_inv scope:SCOPE_SE
	v_add_f64_e64 v[111:112], v[38:39], -v[34:35]
	v_add_f64_e32 v[65:66], v[38:39], v[34:35]
	v_add_f64_e64 v[135:136], v[36:37], -v[32:33]
	v_add_f64_e32 v[0:1], v[63:64], v[0:1]
	v_add_f64_e32 v[2:3], v[127:128], v[2:3]
	;; [unrolled: 1-line block ×3, first 2 shown]
	v_mul_f64_e32 v[127:128], s[30:31], v[111:112]
	v_mul_f64_e32 v[129:130], s[22:23], v[65:66]
	v_add_f64_e32 v[0:1], v[131:132], v[0:1]
	v_add_f64_e32 v[2:3], v[133:134], v[2:3]
	s_delay_alu instid0(VALU_DEP_4) | instskip(NEXT) | instid1(VALU_DEP_4)
	v_fma_f64 v[131:132], v[63:64], s[22:23], -v[127:128]
	v_fma_f64 v[133:134], v[135:136], s[30:31], v[129:130]
	s_delay_alu instid0(VALU_DEP_4) | instskip(NEXT) | instid1(VALU_DEP_4)
	v_add_f64_e32 v[0:1], v[138:139], v[0:1]
	v_add_f64_e32 v[2:3], v[140:141], v[2:3]
	s_delay_alu instid0(VALU_DEP_2) | instskip(NEXT) | instid1(VALU_DEP_2)
	v_add_f64_e32 v[0:1], v[131:132], v[0:1]
	v_add_f64_e32 v[2:3], v[133:134], v[2:3]
	v_cmpx_gt_u32_e32 56, v60
	s_cbranch_execz .LBB0_23
; %bb.22:
	v_add_f64_e32 v[46:47], v[22:23], v[46:47]
	v_add_f64_e32 v[44:45], v[20:21], v[44:45]
	v_mul_f64_e32 v[146:147], s[24:25], v[107:108]
	v_mul_f64_e32 v[133:134], s[24:25], v[109:110]
	s_mov_b32 s1, 0xbfea55e2
	s_mov_b32 s0, s26
	;; [unrolled: 1-line block ×4, first 2 shown]
	v_mul_f64_e32 v[150:151], s[24:25], v[117:118]
	v_mul_f64_e32 v[154:155], s[24:25], v[103:104]
	;; [unrolled: 1-line block ×15, first 2 shown]
	s_wait_alu 0xfffe
	v_mul_f64_e32 v[208:209], s[34:35], v[105:106]
	v_mul_f64_e32 v[212:213], s[34:35], v[93:94]
	;; [unrolled: 1-line block ×10, first 2 shown]
	s_mov_b32 s39, 0x3fe5384d
	s_mov_b32 s38, s20
	v_mul_f64_e32 v[194:195], s[30:31], v[101:102]
	v_mul_f64_e32 v[220:221], s[38:39], v[107:108]
	;; [unrolled: 1-line block ×3, first 2 shown]
	v_add_f64_e32 v[138:139], v[46:47], v[54:55]
	v_add_f64_e32 v[140:141], v[44:45], v[52:53]
	v_mul_f64_e32 v[52:53], s[24:25], v[85:86]
	v_mul_f64_e32 v[54:55], s[24:25], v[83:84]
	;; [unrolled: 1-line block ×4, first 2 shown]
	s_mov_b32 s25, 0xbfddbe06
	v_add_f64_e64 v[97:98], v[97:98], -v[146:147]
	s_wait_alu 0xfffe
	v_mul_f64_e32 v[105:106], s[24:25], v[105:106]
	v_mul_f64_e32 v[198:199], s[28:29], v[101:102]
	;; [unrolled: 1-line block ×3, first 2 shown]
	v_add_f64_e32 v[95:96], v[142:143], v[95:96]
	v_add_f64_e64 v[99:100], v[99:100], -v[144:145]
	v_fma_f64 v[142:143], v[79:80], s[12:13], v[148:149]
	v_fma_f64 v[144:145], v[79:80], s[12:13], -v[148:149]
	v_fma_f64 v[148:149], v[79:80], s[16:17], v[152:153]
	v_fma_f64 v[152:153], v[79:80], s[16:17], -v[152:153]
	v_fma_f64 v[230:231], v[81:82], s[16:17], -v[156:157]
	v_fma_f64 v[156:157], v[81:82], s[16:17], v[156:157]
	v_add_f64_e64 v[121:122], v[121:122], -v[162:163]
	v_add_f64_e64 v[115:116], v[115:116], -v[164:165]
	v_add_f64_e32 v[119:120], v[170:171], v[119:120]
	v_fma_f64 v[146:147], v[77:78], s[4:5], v[186:187]
	v_fma_f64 v[162:163], v[73:74], s[4:5], v[190:191]
	v_fma_f64 v[164:165], v[73:74], s[4:5], -v[190:191]
	v_fma_f64 v[170:171], v[79:80], s[22:23], v[208:209]
	v_fma_f64 v[190:191], v[81:82], s[14:15], -v[214:215]
	v_add_f64_e32 v[127:128], v[166:167], v[127:128]
	v_add_f64_e32 v[123:124], v[168:169], v[123:124]
	v_fma_f64 v[166:167], v[73:74], s[16:17], v[192:193]
	v_fma_f64 v[168:169], v[73:74], s[16:17], -v[192:193]
	v_fma_f64 v[192:193], v[79:80], s[14:15], -v[210:211]
	s_mov_b32 s41, 0x3fedeba7
	s_mov_b32 s40, s28
	v_add_f64_e64 v[129:130], v[129:130], -v[158:159]
	v_add_f64_e64 v[125:126], v[125:126], -v[160:161]
	v_fma_f64 v[158:159], v[73:74], s[22:23], v[188:189]
	v_fma_f64 v[160:161], v[73:74], s[22:23], -v[188:189]
	v_add_f64_e32 v[50:51], v[138:139], v[50:51]
	v_add_f64_e32 v[138:139], v[140:141], v[48:49]
	v_mul_f64_e32 v[140:141], s[20:21], v[93:94]
	v_mul_f64_e32 v[93:94], s[24:25], v[93:94]
	v_fma_f64 v[188:189], v[79:80], s[14:15], v[210:211]
	v_mul_f64_e32 v[216:217], s[0:1], v[117:118]
	v_mul_f64_e32 v[218:219], s[40:41], v[117:118]
	;; [unrolled: 1-line block ×5, first 2 shown]
	v_fma_f64 v[210:211], v[79:80], s[10:11], v[105:106]
	v_mul_f64_e32 v[224:225], s[0:1], v[103:104]
	v_add_f64_e32 v[99:100], v[22:23], v[99:100]
	v_add_f64_e32 v[95:96], v[20:21], v[95:96]
	;; [unrolled: 1-line block ×8, first 2 shown]
	v_mul_f64_e32 v[200:201], s[18:19], v[103:104]
	v_mul_f64_e32 v[226:227], s[40:41], v[103:104]
	;; [unrolled: 1-line block ×3, first 2 shown]
	s_mov_b32 s37, 0x3fcea1e5
	s_mov_b32 s36, s18
	v_add_f64_e32 v[170:171], v[22:23], v[170:171]
	v_add_f64_e32 v[190:191], v[20:21], v[190:191]
	v_mul_f64_e32 v[184:185], s[28:29], v[87:88]
	v_mul_f64_e32 v[202:203], s[28:29], v[83:84]
	v_fma_f64 v[232:233], v[89:90], s[10:11], -v[154:155]
	v_fma_f64 v[154:155], v[89:90], s[10:11], v[154:155]
	v_add_f64_e32 v[192:193], v[22:23], v[192:193]
	v_mul_f64_e32 v[176:177], s[28:29], v[135:136]
	v_mul_f64_e32 v[178:179], s[26:27], v[135:136]
	v_mul_f64_e32 v[180:181], s[20:21], v[135:136]
	v_mul_f64_e32 v[48:49], s[18:19], v[135:136]
	v_mul_f64_e32 v[135:136], s[30:31], v[109:110]
	v_mul_f64_e32 v[182:183], s[20:21], v[109:110]
	v_add_f64_e32 v[42:43], v[50:51], v[42:43]
	v_add_f64_e32 v[40:41], v[138:139], v[40:41]
	v_fma_f64 v[228:229], v[81:82], s[12:13], -v[140:141]
	v_fma_f64 v[140:141], v[81:82], s[12:13], v[140:141]
	v_add_f64_e32 v[188:189], v[22:23], v[188:189]
	v_fma_f64 v[236:237], v[77:78], s[14:15], v[216:217]
	v_fma_f64 v[216:217], v[77:78], s[14:15], -v[216:217]
	v_mul_f64_e32 v[204:205], s[30:31], v[85:86]
	v_mul_f64_e32 v[206:207], s[20:21], v[85:86]
	v_mul_f64_e32 v[50:51], s[28:29], v[111:112]
	v_add_f64_e32 v[210:211], v[22:23], v[210:211]
	v_mul_f64_e32 v[138:139], s[26:27], v[111:112]
	v_add_f64_e32 v[97:98], v[97:98], v[99:100]
	v_mul_f64_e32 v[99:100], s[36:37], v[109:110]
	;; [unrolled: 2-line block ×4, first 2 shown]
	v_mul_f64_e32 v[109:110], s[0:1], v[109:110]
	v_fma_f64 v[234:235], v[89:90], s[4:5], -v[200:201]
	v_fma_f64 v[200:201], v[89:90], s[4:5], v[200:201]
	v_add_f64_e32 v[162:163], v[162:163], v[170:171]
	v_add_f64_e32 v[168:169], v[168:169], v[192:193]
	v_fma_f64 v[170:171], v[61:62], s[22:23], v[135:136]
	v_fma_f64 v[135:136], v[61:62], s[22:23], -v[135:136]
	v_add_f64_e32 v[30:31], v[42:43], v[30:31]
	v_add_f64_e32 v[28:29], v[40:41], v[28:29]
	;; [unrolled: 1-line block ×4, first 2 shown]
	v_fma_f64 v[91:92], v[77:78], s[10:11], v[150:151]
	v_fma_f64 v[113:114], v[77:78], s[10:11], -v[150:151]
	v_fma_f64 v[150:151], v[77:78], s[4:5], -v[186:187]
	;; [unrolled: 1-line block ×4, first 2 shown]
	v_fma_f64 v[186:187], v[81:82], s[22:23], v[212:213]
	v_fma_f64 v[208:209], v[81:82], s[14:15], v[214:215]
	v_fma_f64 v[212:213], v[81:82], s[10:11], -v[93:94]
	v_fma_f64 v[81:82], v[81:82], s[10:11], v[93:94]
	v_fma_f64 v[79:80], v[79:80], s[10:11], -v[105:106]
	v_fma_f64 v[93:94], v[75:76], s[22:23], -v[194:195]
	v_fma_f64 v[105:106], v[75:76], s[22:23], v[194:195]
	v_add_f64_e32 v[228:229], v[20:21], v[228:229]
	v_add_f64_e32 v[140:141], v[20:21], v[140:141]
	v_fma_f64 v[214:215], v[75:76], s[16:17], -v[198:199]
	v_fma_f64 v[198:199], v[75:76], s[16:17], v[198:199]
	v_fma_f64 v[194:195], v[75:76], s[4:5], -v[196:197]
	v_fma_f64 v[196:197], v[75:76], s[4:5], v[196:197]
	v_add_f64_e32 v[166:167], v[166:167], v[188:189]
	v_fma_f64 v[188:189], v[71:72], s[10:11], -v[54:55]
	v_fma_f64 v[54:55], v[71:72], s[10:11], v[54:55]
	v_add_f64_e32 v[30:31], v[30:31], v[38:39]
	v_add_f64_e32 v[28:29], v[28:29], v[36:37]
	v_fma_f64 v[36:37], v[73:74], s[12:13], v[220:221]
	v_fma_f64 v[38:39], v[75:76], s[12:13], -v[222:223]
	v_fma_f64 v[222:223], v[75:76], s[12:13], v[222:223]
	v_add_f64_e32 v[42:43], v[42:43], v[95:96]
	v_mul_f64_e32 v[95:96], s[36:37], v[87:88]
	v_add_f64_e32 v[172:173], v[20:21], v[172:173]
	v_add_f64_e32 v[174:175], v[22:23], v[174:175]
	;; [unrolled: 1-line block ×6, first 2 shown]
	v_fma_f64 v[81:82], v[73:74], s[12:13], -v[220:221]
	v_add_f64_e32 v[22:23], v[22:23], v[79:80]
	v_fma_f64 v[79:80], v[77:78], s[16:17], v[218:219]
	v_fma_f64 v[218:219], v[77:78], s[16:17], -v[218:219]
	v_fma_f64 v[220:221], v[77:78], s[22:23], v[117:118]
	v_fma_f64 v[77:78], v[77:78], s[22:23], -v[117:118]
	;; [unrolled: 2-line block ×3, first 2 shown]
	v_fma_f64 v[107:108], v[75:76], s[14:15], -v[101:102]
	v_fma_f64 v[75:76], v[75:76], s[14:15], v[101:102]
	v_fma_f64 v[101:102], v[89:90], s[14:15], -v[224:225]
	v_fma_f64 v[224:225], v[89:90], s[14:15], v[224:225]
	v_mul_f64_e32 v[87:88], s[38:39], v[87:88]
	v_add_f64_e32 v[93:94], v[93:94], v[228:229]
	v_mul_f64_e32 v[228:229], s[36:37], v[83:84]
	v_mul_f64_e32 v[83:84], s[38:39], v[83:84]
	v_add_f64_e32 v[105:106], v[105:106], v[140:141]
	v_add_f64_e32 v[190:191], v[214:215], v[190:191]
	v_mul_f64_e32 v[140:141], s[36:37], v[85:86]
	v_mul_f64_e32 v[85:86], s[0:1], v[85:86]
	v_add_f64_e32 v[30:31], v[30:31], v[34:35]
	v_add_f64_e32 v[28:29], v[28:29], v[32:33]
	v_add_f64_e32 v[36:37], v[36:37], v[148:149]
	v_add_f64_e32 v[38:39], v[38:39], v[230:231]
	v_add_f64_e32 v[156:157], v[222:223], v[156:157]
	v_fma_f64 v[32:33], v[89:90], s[16:17], -v[226:227]
	v_fma_f64 v[34:35], v[89:90], s[16:17], v[226:227]
	v_add_f64_e32 v[172:173], v[194:195], v[172:173]
	v_add_f64_e32 v[164:165], v[164:165], v[174:175]
	;; [unrolled: 1-line block ×4, first 2 shown]
	v_fma_f64 v[226:227], v[89:90], s[22:23], -v[103:104]
	v_fma_f64 v[89:90], v[89:90], s[22:23], v[103:104]
	v_add_f64_e32 v[81:82], v[81:82], v[152:153]
	v_fma_f64 v[174:175], v[67:68], s[10:11], v[131:132]
	v_fma_f64 v[131:132], v[67:68], s[10:11], -v[131:132]
	v_fma_f64 v[196:197], v[67:68], s[16:17], v[184:185]
	v_fma_f64 v[184:185], v[67:68], s[16:17], -v[184:185]
	v_fma_f64 v[208:209], v[71:72], s[22:23], -v[160:161]
	v_add_f64_e32 v[117:118], v[117:118], v[210:211]
	v_add_f64_e32 v[22:23], v[73:74], v[22:23]
	v_fma_f64 v[73:74], v[71:72], s[16:17], v[202:203]
	v_add_f64_e32 v[20:21], v[75:76], v[20:21]
	v_fma_f64 v[75:76], v[67:68], s[4:5], v[95:96]
	v_fma_f64 v[95:96], v[67:68], s[4:5], -v[95:96]
	v_fma_f64 v[198:199], v[67:68], s[12:13], v[87:88]
	v_fma_f64 v[160:161], v[71:72], s[22:23], v[160:161]
	v_add_f64_e32 v[40:41], v[40:41], v[42:43]
	v_fma_f64 v[210:211], v[71:72], s[12:13], -v[83:84]
	v_add_f64_e32 v[42:43], v[236:237], v[142:143]
	v_add_f64_e32 v[93:94], v[101:102], v[93:94]
	;; [unrolled: 1-line block ×5, first 2 shown]
	v_fma_f64 v[222:223], v[61:62], s[10:11], v[133:134]
	v_fma_f64 v[133:134], v[61:62], s[10:11], -v[133:134]
	v_fma_f64 v[194:195], v[61:62], s[12:13], v[182:183]
	v_fma_f64 v[182:183], v[61:62], s[12:13], -v[182:183]
	v_add_f64_e32 v[26:27], v[30:31], v[26:27]
	v_add_f64_e32 v[24:25], v[28:29], v[24:25]
	;; [unrolled: 1-line block ×3, first 2 shown]
	v_fma_f64 v[30:31], v[71:72], s[16:17], -v[202:203]
	v_fma_f64 v[107:108], v[67:68], s[22:23], v[158:159]
	v_fma_f64 v[158:159], v[67:68], s[22:23], -v[158:159]
	v_fma_f64 v[67:68], v[67:68], s[12:13], -v[87:88]
	;; [unrolled: 1-line block ×3, first 2 shown]
	v_fma_f64 v[202:203], v[71:72], s[4:5], v[228:229]
	v_fma_f64 v[71:72], v[71:72], s[12:13], v[83:84]
	v_add_f64_e32 v[83:84], v[115:116], v[97:98]
	v_add_f64_e32 v[97:98], v[216:217], v[144:145]
	;; [unrolled: 1-line block ×15, first 2 shown]
	v_fma_f64 v[77:78], v[69:70], s[22:23], v[204:205]
	v_fma_f64 v[89:90], v[69:70], s[12:13], -v[206:207]
	v_fma_f64 v[146:147], v[69:70], s[12:13], v[206:207]
	v_fma_f64 v[150:151], v[61:62], s[4:5], v[99:100]
	v_fma_f64 v[99:100], v[61:62], s[4:5], -v[99:100]
	v_fma_f64 v[154:155], v[61:62], s[14:15], v[109:110]
	v_fma_f64 v[61:62], v[61:62], s[14:15], -v[109:110]
	v_fma_f64 v[109:110], v[69:70], s[4:5], -v[140:141]
	v_fma_f64 v[140:141], v[69:70], s[4:5], v[140:141]
	v_fma_f64 v[156:157], v[69:70], s[14:15], -v[85:86]
	v_add_f64_e32 v[42:43], v[75:76], v[42:43]
	v_add_f64_e32 v[40:41], v[119:120], v[40:41]
	v_mul_f64_e32 v[103:104], s[20:21], v[111:112]
	v_add_f64_e32 v[18:19], v[26:27], v[18:19]
	v_add_f64_e32 v[16:17], v[24:25], v[16:17]
	;; [unrolled: 1-line block ×3, first 2 shown]
	v_fma_f64 v[26:27], v[69:70], s[10:11], -v[52:53]
	v_fma_f64 v[28:29], v[69:70], s[10:11], v[52:53]
	v_fma_f64 v[52:53], v[69:70], s[22:23], -v[204:205]
	v_fma_f64 v[69:70], v[69:70], s[14:15], v[85:86]
	v_add_f64_e32 v[75:76], v[87:88], v[93:94]
	v_add_f64_e32 v[87:88], v[202:203], v[101:102]
	v_add_f64_e32 v[67:68], v[67:68], v[142:143]
	v_add_f64_e32 v[83:84], v[121:122], v[83:84]
	v_add_f64_e32 v[85:86], v[95:96], v[97:98]
	v_add_f64_e32 v[36:37], v[107:108], v[36:37]
	v_add_f64_e32 v[81:82], v[158:159], v[81:82]
	v_add_f64_e32 v[91:92], v[160:161], v[91:92]
	v_add_f64_e32 v[38:39], v[208:209], v[38:39]
	v_add_f64_e32 v[71:72], v[71:72], v[144:145]
	v_add_f64_e32 v[32:33], v[188:189], v[32:33]
	v_add_f64_e32 v[93:94], v[131:132], v[105:106]
	v_add_f64_e32 v[34:35], v[54:55], v[34:35]
	v_add_f64_e32 v[79:80], v[174:175], v[79:80]
	v_add_f64_e32 v[54:55], v[198:199], v[113:114]
	v_add_f64_e32 v[95:96], v[210:211], v[115:116]
	v_mul_f64_e32 v[111:112], s[18:19], v[111:112]
	v_add_f64_e32 v[22:23], v[184:185], v[22:23]
	v_add_f64_e32 v[20:21], v[73:74], v[20:21]
	;; [unrolled: 1-line block ×3, first 2 shown]
	v_fma_f64 v[230:231], v[65:66], s[14:15], v[178:179]
	v_fma_f64 v[178:179], v[65:66], s[14:15], -v[178:179]
	v_fma_f64 v[148:149], v[65:66], s[16:17], v[176:177]
	v_fma_f64 v[176:177], v[65:66], s[16:17], -v[176:177]
	;; [unrolled: 2-line block ×3, first 2 shown]
	v_fma_f64 v[105:106], v[63:64], s[10:11], -v[44:45]
	v_fma_f64 v[44:45], v[63:64], s[10:11], v[44:45]
	v_add_f64_e32 v[42:43], v[222:223], v[42:43]
	v_add_f64_e32 v[40:41], v[123:124], v[40:41]
	v_fma_f64 v[152:153], v[65:66], s[12:13], v[180:181]
	v_add_f64_e32 v[14:15], v[18:19], v[14:15]
	v_add_f64_e32 v[12:13], v[16:17], v[12:13]
	;; [unrolled: 1-line block ×3, first 2 shown]
	v_fma_f64 v[18:19], v[63:64], s[16:17], -v[50:51]
	v_fma_f64 v[24:25], v[63:64], s[16:17], v[50:51]
	v_fma_f64 v[50:51], v[63:64], s[14:15], v[138:139]
	v_fma_f64 v[30:31], v[63:64], s[14:15], -v[138:139]
	v_add_f64_e32 v[26:27], v[26:27], v[75:76]
	v_add_f64_e32 v[28:29], v[28:29], v[87:88]
	;; [unrolled: 1-line block ×10, first 2 shown]
	v_fma_f64 v[180:181], v[65:66], s[12:13], -v[180:181]
	v_fma_f64 v[101:102], v[65:66], s[4:5], v[48:49]
	v_fma_f64 v[48:49], v[65:66], s[4:5], -v[48:49]
	v_fma_f64 v[65:66], v[63:64], s[12:13], -v[103:104]
	v_fma_f64 v[103:104], v[63:64], s[12:13], v[103:104]
	v_add_f64_e32 v[32:33], v[156:157], v[32:33]
	v_add_f64_e32 v[61:62], v[61:62], v[93:94]
	;; [unrolled: 1-line block ×6, first 2 shown]
	v_fma_f64 v[107:108], v[63:64], s[4:5], -v[111:112]
	v_fma_f64 v[63:64], v[63:64], s[4:5], v[111:112]
	v_add_f64_e32 v[87:88], v[182:183], v[22:23]
	v_add_f64_e32 v[91:92], v[146:147], v[20:21]
	;; [unrolled: 1-line block ×24, first 2 shown]
	v_mad_u32_u24 v52, 0xc0, v60, v137
	v_add_f64_e32 v[50:51], v[48:49], v[87:88]
	v_add_f64_e32 v[48:49], v[63:64], v[91:92]
	;; [unrolled: 1-line block ×6, first 2 shown]
	ds_store_b128 v52, v[24:27] offset:64
	ds_store_b128 v52, v[16:19] offset:80
	;; [unrolled: 1-line block ×11, first 2 shown]
	ds_store_b128 v52, v[4:7]
	ds_store_b128 v52, v[44:47] offset:192
.LBB0_23:
	s_or_b32 exec_lo, exec_lo, s33
	v_and_b32_e32 v4, 0xff, v60
	global_wb scope:SCOPE_SE
	s_wait_dscnt 0x0
	s_barrier_signal -1
	s_barrier_wait -1
	global_inv scope:SCOPE_SE
	v_mul_lo_u16 v4, 0x4f, v4
	s_mov_b32 s0, 0x37e14327
	s_mov_b32 s1, 0x3fe948f6
	;; [unrolled: 1-line block ×4, first 2 shown]
	v_lshrrev_b16 v69, 10, v4
	s_mov_b32 s5, 0x3fac98ee
	s_mov_b32 s11, 0x3fe11646
	;; [unrolled: 1-line block ×4, first 2 shown]
	v_mul_lo_u16 v4, v69, 13
	s_mov_b32 s15, 0xbfd5d0dc
	s_mov_b32 s14, 0xb247c609
	s_delay_alu instid0(VALU_DEP_1) | instskip(NEXT) | instid1(VALU_DEP_1)
	v_sub_nc_u16 v4, v60, v4
	v_and_b32_e32 v70, 0xff, v4
	s_delay_alu instid0(VALU_DEP_1) | instskip(NEXT) | instid1(VALU_DEP_1)
	v_mul_u32_u24_e32 v4, 6, v70
	v_lshlrev_b32_e32 v24, 4, v4
	s_clause 0x5
	global_load_b128 v[4:7], v24, s[8:9]
	global_load_b128 v[8:11], v24, s[8:9] offset:16
	global_load_b128 v[12:15], v24, s[8:9] offset:80
	;; [unrolled: 1-line block ×5, first 2 shown]
	ds_load_b128 v[28:31], v137 offset:1664
	ds_load_b128 v[32:35], v137 offset:3328
	;; [unrolled: 1-line block ×6, first 2 shown]
	s_wait_loadcnt_dscnt 0x505
	v_mul_f64_e32 v[52:53], v[30:31], v[6:7]
	v_mul_f64_e32 v[6:7], v[28:29], v[6:7]
	s_wait_loadcnt_dscnt 0x404
	v_mul_f64_e32 v[54:55], v[34:35], v[10:11]
	v_mul_f64_e32 v[10:11], v[32:33], v[10:11]
	;; [unrolled: 3-line block ×6, first 2 shown]
	v_fma_f64 v[28:29], v[28:29], v[4:5], v[52:53]
	v_fma_f64 v[4:5], v[30:31], v[4:5], -v[6:7]
	v_fma_f64 v[6:7], v[32:33], v[8:9], v[54:55]
	v_fma_f64 v[8:9], v[34:35], v[8:9], -v[10:11]
	;; [unrolled: 2-line block ×6, first 2 shown]
	v_add_f64_e32 v[26:27], v[28:29], v[10:11]
	v_add_f64_e32 v[30:31], v[4:5], v[12:13]
	;; [unrolled: 1-line block ×4, first 2 shown]
	v_add_f64_e64 v[14:15], v[6:7], -v[14:15]
	v_add_f64_e64 v[8:9], v[8:9], -v[16:17]
	v_add_f64_e32 v[36:37], v[18:19], v[22:23]
	v_add_f64_e32 v[38:39], v[20:21], v[24:25]
	v_add_f64_e64 v[16:17], v[22:23], -v[18:19]
	v_add_f64_e64 v[18:19], v[24:25], -v[20:21]
	;; [unrolled: 1-line block ×4, first 2 shown]
	v_add_f64_e32 v[4:5], v[32:33], v[26:27]
	v_add_f64_e32 v[6:7], v[34:35], v[30:31]
	v_add_f64_e64 v[20:21], v[26:27], -v[36:37]
	v_add_f64_e64 v[22:23], v[30:31], -v[38:39]
	;; [unrolled: 1-line block ×10, first 2 shown]
	v_add_f64_e32 v[14:15], v[16:17], v[14:15]
	v_add_f64_e32 v[8:9], v[18:19], v[8:9]
	v_add_f64_e64 v[16:17], v[10:11], -v[16:17]
	v_add_f64_e64 v[18:19], v[12:13], -v[18:19]
	v_add_f64_e32 v[36:37], v[36:37], v[4:5]
	v_add_f64_e32 v[38:39], v[38:39], v[6:7]
	ds_load_b128 v[4:7], v137
	global_wb scope:SCOPE_SE
	s_wait_dscnt 0x0
	s_wait_alu 0xfffe
	v_mul_f64_e32 v[20:21], s[0:1], v[20:21]
	v_mul_f64_e32 v[22:23], s[0:1], v[22:23]
	s_mov_b32 s0, 0x429ad128
	v_mul_f64_e32 v[32:33], s[4:5], v[24:25]
	v_mul_f64_e32 v[34:35], s[4:5], v[28:29]
	;; [unrolled: 1-line block ×4, first 2 shown]
	s_mov_b32 s1, 0xbfebfeb5
	s_mov_b32 s10, 0xaaaaaaaa
	s_wait_alu 0xfffe
	v_mul_f64_e32 v[48:49], s[0:1], v[44:45]
	v_mul_f64_e32 v[50:51], s[0:1], v[46:47]
	s_mov_b32 s11, 0xbff2aaaa
	v_add_f64_e32 v[10:11], v[14:15], v[10:11]
	v_add_f64_e32 v[8:9], v[8:9], v[12:13]
	s_barrier_signal -1
	s_barrier_wait -1
	global_inv scope:SCOPE_SE
	v_add_f64_e32 v[4:5], v[4:5], v[36:37]
	v_add_f64_e32 v[6:7], v[6:7], v[38:39]
	v_fma_f64 v[12:13], v[24:25], s[4:5], v[20:21]
	v_fma_f64 v[14:15], v[28:29], s[4:5], v[22:23]
	v_fma_f64 v[24:25], v[26:27], s[12:13], -v[32:33]
	v_fma_f64 v[28:29], v[30:31], s[12:13], -v[34:35]
	s_mov_b32 s13, 0xbfe77f67
	v_fma_f64 v[32:33], v[16:17], s[14:15], v[40:41]
	v_fma_f64 v[34:35], v[18:19], s[14:15], v[42:43]
	s_mov_b32 s15, 0x3fd5d0dc
	v_fma_f64 v[40:41], v[44:45], s[0:1], -v[40:41]
	v_fma_f64 v[42:43], v[46:47], s[0:1], -v[42:43]
	s_wait_alu 0xfffe
	v_fma_f64 v[16:17], v[16:17], s[14:15], -v[48:49]
	v_fma_f64 v[18:19], v[18:19], s[14:15], -v[50:51]
	;; [unrolled: 1-line block ×4, first 2 shown]
	s_mov_b32 s0, 0x37c3f68c
	s_mov_b32 s1, 0xbfdc38aa
	v_fma_f64 v[36:37], v[36:37], s[10:11], v[4:5]
	v_fma_f64 v[38:39], v[38:39], s[10:11], v[6:7]
	s_wait_alu 0xfffe
	v_fma_f64 v[30:31], v[10:11], s[0:1], v[32:33]
	v_fma_f64 v[32:33], v[8:9], s[0:1], v[34:35]
	;; [unrolled: 1-line block ×6, first 2 shown]
	v_cmp_gt_u32_e64 s0, 0x5b, v60
	v_add_f64_e32 v[44:45], v[12:13], v[36:37]
	v_add_f64_e32 v[46:47], v[14:15], v[38:39]
	;; [unrolled: 1-line block ×7, first 2 shown]
	v_add_f64_e64 v[10:11], v[46:47], -v[30:31]
	v_add_f64_e32 v[12:13], v[42:43], v[48:49]
	v_add_f64_e64 v[14:15], v[50:51], -v[40:41]
	v_add_f64_e64 v[16:17], v[20:21], -v[34:35]
	v_add_f64_e32 v[18:19], v[26:27], v[22:23]
	v_add_f64_e32 v[20:21], v[34:35], v[20:21]
	v_add_f64_e64 v[22:23], v[22:23], -v[26:27]
	v_add_f64_e64 v[24:25], v[48:49], -v[42:43]
	v_add_f64_e32 v[26:27], v[40:41], v[50:51]
	v_add_f64_e64 v[28:29], v[44:45], -v[32:33]
	v_add_f64_e32 v[30:31], v[30:31], v[46:47]
	v_and_b32_e32 v32, 0xffff, v69
	v_lshlrev_b32_e32 v33, 4, v70
	s_delay_alu instid0(VALU_DEP_2) | instskip(NEXT) | instid1(VALU_DEP_1)
	v_mul_u32_u24_e32 v32, 0x5b0, v32
	v_add3_u32 v32, 0, v32, v33
	ds_store_b128 v32, v[4:7]
	ds_store_b128 v32, v[8:11] offset:208
	ds_store_b128 v32, v[12:15] offset:416
	;; [unrolled: 1-line block ×6, first 2 shown]
	global_wb scope:SCOPE_SE
	s_wait_dscnt 0x0
	s_barrier_signal -1
	s_barrier_wait -1
	global_inv scope:SCOPE_SE
	s_and_saveexec_b32 s1, s0
	s_cbranch_execz .LBB0_25
; %bb.24:
	ds_load_b128 v[4:7], v137
	ds_load_b128 v[8:11], v137 offset:1456
	ds_load_b128 v[12:15], v137 offset:2912
	;; [unrolled: 1-line block ×7, first 2 shown]
.LBB0_25:
	s_wait_alu 0xfffe
	s_or_b32 exec_lo, exec_lo, s1
	global_wb scope:SCOPE_SE
	s_wait_dscnt 0x0
	s_barrier_signal -1
	s_barrier_wait -1
	global_inv scope:SCOPE_SE
	s_and_saveexec_b32 s1, s0
	s_cbranch_execz .LBB0_27
; %bb.26:
	v_dual_mov_b32 v33, 0 :: v_dual_add_nc_u32 v32, 0xffffffa5, v60
	s_mov_b32 s4, 0x667f3bcd
	s_mov_b32 s5, 0x3fe6a09e
	s_delay_alu instid0(VALU_DEP_1) | instskip(NEXT) | instid1(VALU_DEP_1)
	v_cndmask_b32_e64 v32, v32, v60, s0
	v_mul_i32_i24_e32 v32, 7, v32
	s_delay_alu instid0(VALU_DEP_1) | instskip(NEXT) | instid1(VALU_DEP_1)
	v_lshlrev_b64_e32 v[32:33], 4, v[32:33]
	v_add_co_u32 v61, s0, s8, v32
	s_wait_alu 0xf1ff
	s_delay_alu instid0(VALU_DEP_2)
	v_add_co_ci_u32_e64 v62, s0, s9, v33, s0
	s_mov_b32 s9, 0xbfe6a09e
	s_wait_alu 0xfffe
	s_mov_b32 s8, s4
	s_clause 0x6
	global_load_b128 v[32:35], v[61:62], off offset:1296
	global_load_b128 v[36:39], v[61:62], off offset:1264
	;; [unrolled: 1-line block ×7, first 2 shown]
	s_wait_loadcnt 0x6
	v_mul_f64_e32 v[65:66], v[20:21], v[34:35]
	s_wait_loadcnt 0x5
	v_mul_f64_e32 v[67:68], v[14:15], v[38:39]
	;; [unrolled: 2-line block ×7, first 2 shown]
	v_mul_f64_e32 v[46:47], v[10:11], v[46:47]
	v_mul_f64_e32 v[38:39], v[12:13], v[38:39]
	;; [unrolled: 1-line block ×7, first 2 shown]
	v_fma_f64 v[22:23], v[22:23], v[32:33], -v[65:66]
	v_fma_f64 v[12:13], v[12:13], v[36:37], v[67:68]
	v_fma_f64 v[28:29], v[28:29], v[40:41], v[69:70]
	v_fma_f64 v[10:11], v[10:11], v[44:45], -v[71:72]
	v_fma_f64 v[26:27], v[26:27], v[48:49], -v[73:74]
	v_fma_f64 v[16:17], v[16:17], v[52:53], v[75:76]
	v_fma_f64 v[0:1], v[0:1], v[61:62], v[77:78]
	;; [unrolled: 1-line block ×3, first 2 shown]
	v_fma_f64 v[14:15], v[14:15], v[36:37], -v[38:39]
	v_fma_f64 v[30:31], v[30:31], v[40:41], -v[42:43]
	v_fma_f64 v[24:25], v[24:25], v[48:49], v[50:51]
	v_fma_f64 v[20:21], v[20:21], v[32:33], v[34:35]
	v_fma_f64 v[18:19], v[18:19], v[52:53], -v[54:55]
	v_fma_f64 v[2:3], v[2:3], v[61:62], -v[63:64]
	v_add_f64_e64 v[22:23], v[6:7], -v[22:23]
	v_add_f64_e64 v[28:29], v[12:13], -v[28:29]
	;; [unrolled: 1-line block ×8, first 2 shown]
	v_fma_f64 v[6:7], v[6:7], 2.0, -v[22:23]
	v_add_f64_e64 v[32:33], v[22:23], -v[28:29]
	v_fma_f64 v[12:13], v[12:13], 2.0, -v[28:29]
	v_fma_f64 v[10:11], v[10:11], 2.0, -v[26:27]
	v_add_f64_e64 v[34:35], v[26:27], -v[0:1]
	v_fma_f64 v[0:1], v[16:17], 2.0, -v[0:1]
	v_fma_f64 v[14:15], v[14:15], 2.0, -v[30:31]
	;; [unrolled: 1-line block ×4, first 2 shown]
	v_add_f64_e32 v[28:29], v[20:21], v[30:31]
	v_fma_f64 v[16:17], v[18:19], 2.0, -v[2:3]
	v_add_f64_e32 v[2:3], v[24:25], v[2:3]
	v_fma_f64 v[36:37], v[22:23], 2.0, -v[32:33]
	v_fma_f64 v[18:19], v[26:27], 2.0, -v[34:35]
	v_add_f64_e64 v[30:31], v[6:7], -v[14:15]
	v_add_f64_e64 v[0:1], v[8:9], -v[0:1]
	;; [unrolled: 1-line block ×4, first 2 shown]
	v_fma_f64 v[12:13], v[24:25], 2.0, -v[2:3]
	v_fma_f64 v[24:25], v[20:21], 2.0, -v[28:29]
	v_fma_f64 v[20:21], v[34:35], s[4:5], v[32:33]
	v_fma_f64 v[22:23], v[2:3], s[4:5], v[28:29]
	s_wait_alu 0xfffe
	v_fma_f64 v[26:27], v[18:19], s[8:9], v[36:37]
	v_fma_f64 v[38:39], v[6:7], 2.0, -v[30:31]
	v_fma_f64 v[8:9], v[8:9], 2.0, -v[0:1]
	v_add_f64_e64 v[6:7], v[30:31], -v[0:1]
	v_fma_f64 v[40:41], v[10:11], 2.0, -v[14:15]
	v_fma_f64 v[42:43], v[4:5], 2.0, -v[16:17]
	v_add_f64_e32 v[4:5], v[16:17], v[14:15]
	v_fma_f64 v[44:45], v[12:13], s[8:9], v[24:25]
	v_fma_f64 v[2:3], v[2:3], s[8:9], v[20:21]
	;; [unrolled: 1-line block ×4, first 2 shown]
	v_fma_f64 v[22:23], v[30:31], 2.0, -v[6:7]
	v_add_f64_e64 v[14:15], v[38:39], -v[40:41]
	v_add_f64_e64 v[12:13], v[42:43], -v[8:9]
	v_fma_f64 v[20:21], v[16:17], 2.0, -v[4:5]
	v_fma_f64 v[8:9], v[18:19], s[4:5], v[44:45]
	v_fma_f64 v[18:19], v[32:33], 2.0, -v[2:3]
	v_fma_f64 v[16:17], v[28:29], 2.0, -v[0:1]
	;; [unrolled: 1-line block ×6, first 2 shown]
	ds_store_b128 v137, v[20:23] offset:2912
	ds_store_b128 v137, v[16:19] offset:4368
	;; [unrolled: 1-line block ×4, first 2 shown]
	ds_store_b128 v137, v[28:31]
	ds_store_b128 v137, v[24:27] offset:1456
	ds_store_b128 v137, v[4:7] offset:8736
	;; [unrolled: 1-line block ×3, first 2 shown]
.LBB0_27:
	s_wait_alu 0xfffe
	s_or_b32 exec_lo, exec_lo, s1
	global_wb scope:SCOPE_SE
	s_wait_dscnt 0x0
	s_barrier_signal -1
	s_barrier_wait -1
	global_inv scope:SCOPE_SE
	s_and_saveexec_b32 s0, vcc_lo
	s_cbranch_execz .LBB0_29
; %bb.28:
	v_mul_lo_u32 v2, s3, v58
	v_mul_lo_u32 v3, s2, v59
	v_mad_co_u64_u32 v[0:1], null, s2, v58, 0
	v_lshl_add_u32 v17, v60, 4, 0
	v_dual_mov_b32 v61, 0 :: v_dual_add_nc_u32 v10, 0x68, v60
	v_lshlrev_b64_e32 v[8:9], 4, v[56:57]
	v_add_nc_u32_e32 v12, 0xd0, v60
	s_delay_alu instid0(VALU_DEP_3) | instskip(SKIP_3) | instid1(VALU_DEP_3)
	v_dual_mov_b32 v11, v61 :: v_dual_add_nc_u32 v24, 0x208, v60
	v_add3_u32 v1, v1, v3, v2
	v_lshlrev_b64_e32 v[15:16], 4, v[60:61]
	v_mov_b32_e32 v25, v61
	v_lshlrev_b64_e32 v[13:14], 4, v[0:1]
	ds_load_b128 v[0:3], v17
	ds_load_b128 v[4:7], v17 offset:1664
	v_add_co_u32 v18, vcc_lo, s6, v13
	s_wait_alu 0xfffd
	v_add_co_ci_u32_e32 v14, vcc_lo, s7, v14, vcc_lo
	v_mov_b32_e32 v13, v61
	s_delay_alu instid0(VALU_DEP_3) | instskip(SKIP_1) | instid1(VALU_DEP_3)
	v_add_co_u32 v30, vcc_lo, v18, v8
	s_wait_alu 0xfffd
	v_add_co_ci_u32_e32 v31, vcc_lo, v14, v9, vcc_lo
	v_lshlrev_b64_e32 v[8:9], 4, v[10:11]
	s_delay_alu instid0(VALU_DEP_3) | instskip(SKIP_1) | instid1(VALU_DEP_3)
	v_add_co_u32 v10, vcc_lo, v30, v15
	s_wait_alu 0xfffd
	v_add_co_ci_u32_e32 v11, vcc_lo, v31, v16, vcc_lo
	s_delay_alu instid0(VALU_DEP_3)
	v_add_co_u32 v8, vcc_lo, v30, v8
	s_wait_alu 0xfffd
	v_add_co_ci_u32_e32 v9, vcc_lo, v31, v9, vcc_lo
	s_wait_dscnt 0x1
	global_store_b128 v[10:11], v[0:3], off
	s_wait_dscnt 0x0
	global_store_b128 v[8:9], v[4:7], off
	v_dual_mov_b32 v1, v61 :: v_dual_add_nc_u32 v0, 0x138, v60
	v_add_nc_u32_e32 v10, 0x1a0, v60
	v_lshlrev_b64_e32 v[12:13], 4, v[12:13]
	v_dual_mov_b32 v11, v61 :: v_dual_add_nc_u32 v60, 0x270, v60
	s_delay_alu instid0(VALU_DEP_4)
	v_lshlrev_b64_e32 v[8:9], 4, v[0:1]
	ds_load_b128 v[0:3], v17 offset:3328
	ds_load_b128 v[4:7], v17 offset:4992
	v_lshlrev_b64_e32 v[24:25], 4, v[24:25]
	v_add_co_u32 v20, vcc_lo, v30, v12
	s_wait_alu 0xfffd
	v_add_co_ci_u32_e32 v21, vcc_lo, v31, v13, vcc_lo
	v_add_co_u32 v22, vcc_lo, v30, v8
	s_wait_alu 0xfffd
	v_add_co_ci_u32_e32 v23, vcc_lo, v31, v9, vcc_lo
	v_lshlrev_b64_e32 v[26:27], 4, v[10:11]
	ds_load_b128 v[8:11], v17 offset:6656
	ds_load_b128 v[12:15], v17 offset:8320
	;; [unrolled: 1-line block ×3, first 2 shown]
	v_lshlrev_b64_e32 v[28:29], 4, v[60:61]
	v_add_co_u32 v26, vcc_lo, v30, v26
	s_wait_alu 0xfffd
	v_add_co_ci_u32_e32 v27, vcc_lo, v31, v27, vcc_lo
	v_add_co_u32 v24, vcc_lo, v30, v24
	s_wait_alu 0xfffd
	v_add_co_ci_u32_e32 v25, vcc_lo, v31, v25, vcc_lo
	;; [unrolled: 3-line block ×3, first 2 shown]
	s_wait_dscnt 0x4
	global_store_b128 v[20:21], v[0:3], off
	s_wait_dscnt 0x3
	global_store_b128 v[22:23], v[4:7], off
	;; [unrolled: 2-line block ×5, first 2 shown]
.LBB0_29:
	s_nop 0
	s_sendmsg sendmsg(MSG_DEALLOC_VGPRS)
	s_endpgm
	.section	.rodata,"a",@progbits
	.p2align	6, 0x0
	.amdhsa_kernel fft_rtc_back_len728_factors_13_7_8_wgs_104_tpt_104_halfLds_dp_op_CI_CI_unitstride_sbrr_C2R_dirReg
		.amdhsa_group_segment_fixed_size 0
		.amdhsa_private_segment_fixed_size 0
		.amdhsa_kernarg_size 104
		.amdhsa_user_sgpr_count 2
		.amdhsa_user_sgpr_dispatch_ptr 0
		.amdhsa_user_sgpr_queue_ptr 0
		.amdhsa_user_sgpr_kernarg_segment_ptr 1
		.amdhsa_user_sgpr_dispatch_id 0
		.amdhsa_user_sgpr_private_segment_size 0
		.amdhsa_wavefront_size32 1
		.amdhsa_uses_dynamic_stack 0
		.amdhsa_enable_private_segment 0
		.amdhsa_system_sgpr_workgroup_id_x 1
		.amdhsa_system_sgpr_workgroup_id_y 0
		.amdhsa_system_sgpr_workgroup_id_z 0
		.amdhsa_system_sgpr_workgroup_info 0
		.amdhsa_system_vgpr_workitem_id 0
		.amdhsa_next_free_vgpr 238
		.amdhsa_next_free_sgpr 42
		.amdhsa_reserve_vcc 1
		.amdhsa_float_round_mode_32 0
		.amdhsa_float_round_mode_16_64 0
		.amdhsa_float_denorm_mode_32 3
		.amdhsa_float_denorm_mode_16_64 3
		.amdhsa_fp16_overflow 0
		.amdhsa_workgroup_processor_mode 1
		.amdhsa_memory_ordered 1
		.amdhsa_forward_progress 0
		.amdhsa_round_robin_scheduling 0
		.amdhsa_exception_fp_ieee_invalid_op 0
		.amdhsa_exception_fp_denorm_src 0
		.amdhsa_exception_fp_ieee_div_zero 0
		.amdhsa_exception_fp_ieee_overflow 0
		.amdhsa_exception_fp_ieee_underflow 0
		.amdhsa_exception_fp_ieee_inexact 0
		.amdhsa_exception_int_div_zero 0
	.end_amdhsa_kernel
	.text
.Lfunc_end0:
	.size	fft_rtc_back_len728_factors_13_7_8_wgs_104_tpt_104_halfLds_dp_op_CI_CI_unitstride_sbrr_C2R_dirReg, .Lfunc_end0-fft_rtc_back_len728_factors_13_7_8_wgs_104_tpt_104_halfLds_dp_op_CI_CI_unitstride_sbrr_C2R_dirReg
                                        ; -- End function
	.section	.AMDGPU.csdata,"",@progbits
; Kernel info:
; codeLenInByte = 8288
; NumSgprs: 44
; NumVgprs: 238
; ScratchSize: 0
; MemoryBound: 0
; FloatMode: 240
; IeeeMode: 1
; LDSByteSize: 0 bytes/workgroup (compile time only)
; SGPRBlocks: 5
; VGPRBlocks: 29
; NumSGPRsForWavesPerEU: 44
; NumVGPRsForWavesPerEU: 238
; Occupancy: 6
; WaveLimiterHint : 1
; COMPUTE_PGM_RSRC2:SCRATCH_EN: 0
; COMPUTE_PGM_RSRC2:USER_SGPR: 2
; COMPUTE_PGM_RSRC2:TRAP_HANDLER: 0
; COMPUTE_PGM_RSRC2:TGID_X_EN: 1
; COMPUTE_PGM_RSRC2:TGID_Y_EN: 0
; COMPUTE_PGM_RSRC2:TGID_Z_EN: 0
; COMPUTE_PGM_RSRC2:TIDIG_COMP_CNT: 0
	.text
	.p2alignl 7, 3214868480
	.fill 96, 4, 3214868480
	.type	__hip_cuid_cdcbd6bd5e3ed8e1,@object ; @__hip_cuid_cdcbd6bd5e3ed8e1
	.section	.bss,"aw",@nobits
	.globl	__hip_cuid_cdcbd6bd5e3ed8e1
__hip_cuid_cdcbd6bd5e3ed8e1:
	.byte	0                               ; 0x0
	.size	__hip_cuid_cdcbd6bd5e3ed8e1, 1

	.ident	"AMD clang version 19.0.0git (https://github.com/RadeonOpenCompute/llvm-project roc-6.4.0 25133 c7fe45cf4b819c5991fe208aaa96edf142730f1d)"
	.section	".note.GNU-stack","",@progbits
	.addrsig
	.addrsig_sym __hip_cuid_cdcbd6bd5e3ed8e1
	.amdgpu_metadata
---
amdhsa.kernels:
  - .args:
      - .actual_access:  read_only
        .address_space:  global
        .offset:         0
        .size:           8
        .value_kind:     global_buffer
      - .offset:         8
        .size:           8
        .value_kind:     by_value
      - .actual_access:  read_only
        .address_space:  global
        .offset:         16
        .size:           8
        .value_kind:     global_buffer
      - .actual_access:  read_only
        .address_space:  global
        .offset:         24
        .size:           8
        .value_kind:     global_buffer
      - .actual_access:  read_only
        .address_space:  global
        .offset:         32
        .size:           8
        .value_kind:     global_buffer
      - .offset:         40
        .size:           8
        .value_kind:     by_value
      - .actual_access:  read_only
        .address_space:  global
        .offset:         48
        .size:           8
        .value_kind:     global_buffer
      - .actual_access:  read_only
        .address_space:  global
        .offset:         56
        .size:           8
        .value_kind:     global_buffer
      - .offset:         64
        .size:           4
        .value_kind:     by_value
      - .actual_access:  read_only
        .address_space:  global
        .offset:         72
        .size:           8
        .value_kind:     global_buffer
      - .actual_access:  read_only
        .address_space:  global
        .offset:         80
        .size:           8
        .value_kind:     global_buffer
      - .actual_access:  read_only
        .address_space:  global
        .offset:         88
        .size:           8
        .value_kind:     global_buffer
      - .actual_access:  write_only
        .address_space:  global
        .offset:         96
        .size:           8
        .value_kind:     global_buffer
    .group_segment_fixed_size: 0
    .kernarg_segment_align: 8
    .kernarg_segment_size: 104
    .language:       OpenCL C
    .language_version:
      - 2
      - 0
    .max_flat_workgroup_size: 104
    .name:           fft_rtc_back_len728_factors_13_7_8_wgs_104_tpt_104_halfLds_dp_op_CI_CI_unitstride_sbrr_C2R_dirReg
    .private_segment_fixed_size: 0
    .sgpr_count:     44
    .sgpr_spill_count: 0
    .symbol:         fft_rtc_back_len728_factors_13_7_8_wgs_104_tpt_104_halfLds_dp_op_CI_CI_unitstride_sbrr_C2R_dirReg.kd
    .uniform_work_group_size: 1
    .uses_dynamic_stack: false
    .vgpr_count:     238
    .vgpr_spill_count: 0
    .wavefront_size: 32
    .workgroup_processor_mode: 1
amdhsa.target:   amdgcn-amd-amdhsa--gfx1201
amdhsa.version:
  - 1
  - 2
...

	.end_amdgpu_metadata
